;; amdgpu-corpus repo=ROCm/rocFFT kind=compiled arch=gfx1030 opt=O3
	.text
	.amdgcn_target "amdgcn-amd-amdhsa--gfx1030"
	.amdhsa_code_object_version 6
	.protected	fft_rtc_fwd_len400_factors_4_10_10_wgs_120_tpt_40_halfLds_dp_op_CI_CI_sbrr_dirReg ; -- Begin function fft_rtc_fwd_len400_factors_4_10_10_wgs_120_tpt_40_halfLds_dp_op_CI_CI_sbrr_dirReg
	.globl	fft_rtc_fwd_len400_factors_4_10_10_wgs_120_tpt_40_halfLds_dp_op_CI_CI_sbrr_dirReg
	.p2align	8
	.type	fft_rtc_fwd_len400_factors_4_10_10_wgs_120_tpt_40_halfLds_dp_op_CI_CI_sbrr_dirReg,@function
fft_rtc_fwd_len400_factors_4_10_10_wgs_120_tpt_40_halfLds_dp_op_CI_CI_sbrr_dirReg: ; @fft_rtc_fwd_len400_factors_4_10_10_wgs_120_tpt_40_halfLds_dp_op_CI_CI_sbrr_dirReg
; %bb.0:
	s_clause 0x1
	s_load_dwordx4 s[16:19], s[4:5], 0x18
	s_load_dwordx4 s[12:15], s[4:5], 0x0
	v_mul_u32_u24_e32 v1, 0x667, v0
	v_mov_b32_e32 v4, 0
	v_mov_b32_e32 v5, 0
	s_load_dwordx4 s[8:11], s[4:5], 0x58
	s_waitcnt lgkmcnt(0)
	s_load_dwordx2 s[20:21], s[16:17], 0x0
	s_load_dwordx2 s[2:3], s[18:19], 0x0
	v_lshrrev_b32_e32 v2, 16, v1
	v_mov_b32_e32 v1, 0
	v_cmp_lt_u64_e64 s0, s[14:15], 2
	v_mov_b32_e32 v49, v5
	v_mov_b32_e32 v48, v4
	v_mad_u64_u32 v[52:53], null, s6, 3, v[2:3]
	v_mov_b32_e32 v53, v1
	s_and_b32 vcc_lo, exec_lo, s0
	v_mov_b32_e32 v50, v52
	v_mov_b32_e32 v51, v53
	s_cbranch_vccnz .LBB0_8
; %bb.1:
	s_load_dwordx2 s[0:1], s[4:5], 0x10
	v_mov_b32_e32 v4, 0
	v_mov_b32_e32 v5, 0
	s_add_u32 s6, s18, 8
	v_mov_b32_e32 v6, v52
	s_addc_u32 s7, s19, 0
	v_mov_b32_e32 v7, v53
	v_mov_b32_e32 v49, v5
	s_add_u32 s22, s16, 8
	v_mov_b32_e32 v48, v4
	s_addc_u32 s23, s17, 0
	s_mov_b64 s[26:27], 1
	s_waitcnt lgkmcnt(0)
	s_add_u32 s24, s0, 8
	s_addc_u32 s25, s1, 0
.LBB0_2:                                ; =>This Inner Loop Header: Depth=1
	s_load_dwordx2 s[28:29], s[24:25], 0x0
                                        ; implicit-def: $vgpr50_vgpr51
	s_mov_b32 s0, exec_lo
	s_waitcnt lgkmcnt(0)
	v_or_b32_e32 v2, s29, v7
	v_cmpx_ne_u64_e32 0, v[1:2]
	s_xor_b32 s1, exec_lo, s0
	s_cbranch_execz .LBB0_4
; %bb.3:                                ;   in Loop: Header=BB0_2 Depth=1
	v_cvt_f32_u32_e32 v2, s28
	v_cvt_f32_u32_e32 v3, s29
	s_sub_u32 s0, 0, s28
	s_subb_u32 s30, 0, s29
	v_fmac_f32_e32 v2, 0x4f800000, v3
	v_rcp_f32_e32 v2, v2
	v_mul_f32_e32 v2, 0x5f7ffffc, v2
	v_mul_f32_e32 v3, 0x2f800000, v2
	v_trunc_f32_e32 v3, v3
	v_fmac_f32_e32 v2, 0xcf800000, v3
	v_cvt_u32_f32_e32 v3, v3
	v_cvt_u32_f32_e32 v2, v2
	v_mul_lo_u32 v8, s0, v3
	v_mul_hi_u32 v9, s0, v2
	v_mul_lo_u32 v10, s30, v2
	v_add_nc_u32_e32 v8, v9, v8
	v_mul_lo_u32 v9, s0, v2
	v_add_nc_u32_e32 v8, v8, v10
	v_mul_hi_u32 v10, v2, v9
	v_mul_lo_u32 v11, v2, v8
	v_mul_hi_u32 v12, v2, v8
	v_mul_hi_u32 v13, v3, v9
	v_mul_lo_u32 v9, v3, v9
	v_mul_hi_u32 v14, v3, v8
	v_mul_lo_u32 v8, v3, v8
	v_add_co_u32 v10, vcc_lo, v10, v11
	v_add_co_ci_u32_e32 v11, vcc_lo, 0, v12, vcc_lo
	v_add_co_u32 v9, vcc_lo, v10, v9
	v_add_co_ci_u32_e32 v9, vcc_lo, v11, v13, vcc_lo
	v_add_co_ci_u32_e32 v10, vcc_lo, 0, v14, vcc_lo
	v_add_co_u32 v8, vcc_lo, v9, v8
	v_add_co_ci_u32_e32 v9, vcc_lo, 0, v10, vcc_lo
	v_add_co_u32 v2, vcc_lo, v2, v8
	v_add_co_ci_u32_e32 v3, vcc_lo, v3, v9, vcc_lo
	v_mul_hi_u32 v8, s0, v2
	v_mul_lo_u32 v10, s30, v2
	v_mul_lo_u32 v9, s0, v3
	v_add_nc_u32_e32 v8, v8, v9
	v_mul_lo_u32 v9, s0, v2
	v_add_nc_u32_e32 v8, v8, v10
	v_mul_hi_u32 v10, v2, v9
	v_mul_lo_u32 v11, v2, v8
	v_mul_hi_u32 v12, v2, v8
	v_mul_hi_u32 v13, v3, v9
	v_mul_lo_u32 v9, v3, v9
	v_mul_hi_u32 v14, v3, v8
	v_mul_lo_u32 v8, v3, v8
	v_add_co_u32 v10, vcc_lo, v10, v11
	v_add_co_ci_u32_e32 v11, vcc_lo, 0, v12, vcc_lo
	v_add_co_u32 v9, vcc_lo, v10, v9
	v_add_co_ci_u32_e32 v9, vcc_lo, v11, v13, vcc_lo
	v_add_co_ci_u32_e32 v10, vcc_lo, 0, v14, vcc_lo
	v_add_co_u32 v8, vcc_lo, v9, v8
	v_add_co_ci_u32_e32 v9, vcc_lo, 0, v10, vcc_lo
	v_add_co_u32 v8, vcc_lo, v2, v8
	v_add_co_ci_u32_e32 v10, vcc_lo, v3, v9, vcc_lo
	v_mul_hi_u32 v12, v6, v8
	v_mad_u64_u32 v[8:9], null, v7, v8, 0
	v_mad_u64_u32 v[2:3], null, v6, v10, 0
	v_mad_u64_u32 v[10:11], null, v7, v10, 0
	v_add_co_u32 v2, vcc_lo, v12, v2
	v_add_co_ci_u32_e32 v3, vcc_lo, 0, v3, vcc_lo
	v_add_co_u32 v2, vcc_lo, v2, v8
	v_add_co_ci_u32_e32 v2, vcc_lo, v3, v9, vcc_lo
	v_add_co_ci_u32_e32 v3, vcc_lo, 0, v11, vcc_lo
	v_add_co_u32 v8, vcc_lo, v2, v10
	v_add_co_ci_u32_e32 v9, vcc_lo, 0, v3, vcc_lo
	v_mul_lo_u32 v10, s29, v8
	v_mad_u64_u32 v[2:3], null, s28, v8, 0
	v_mul_lo_u32 v11, s28, v9
	v_sub_co_u32 v2, vcc_lo, v6, v2
	v_add3_u32 v3, v3, v11, v10
	v_sub_nc_u32_e32 v10, v7, v3
	v_subrev_co_ci_u32_e64 v10, s0, s29, v10, vcc_lo
	v_add_co_u32 v11, s0, v8, 2
	v_add_co_ci_u32_e64 v12, s0, 0, v9, s0
	v_sub_co_u32 v13, s0, v2, s28
	v_sub_co_ci_u32_e32 v3, vcc_lo, v7, v3, vcc_lo
	v_subrev_co_ci_u32_e64 v10, s0, 0, v10, s0
	v_cmp_le_u32_e32 vcc_lo, s28, v13
	v_cmp_eq_u32_e64 s0, s29, v3
	v_cndmask_b32_e64 v13, 0, -1, vcc_lo
	v_cmp_le_u32_e32 vcc_lo, s29, v10
	v_cndmask_b32_e64 v14, 0, -1, vcc_lo
	v_cmp_le_u32_e32 vcc_lo, s28, v2
	;; [unrolled: 2-line block ×3, first 2 shown]
	v_cndmask_b32_e64 v15, 0, -1, vcc_lo
	v_cmp_eq_u32_e32 vcc_lo, s29, v10
	v_cndmask_b32_e64 v2, v15, v2, s0
	v_cndmask_b32_e32 v10, v14, v13, vcc_lo
	v_add_co_u32 v13, vcc_lo, v8, 1
	v_add_co_ci_u32_e32 v14, vcc_lo, 0, v9, vcc_lo
	v_cmp_ne_u32_e32 vcc_lo, 0, v10
	v_cndmask_b32_e32 v3, v14, v12, vcc_lo
	v_cndmask_b32_e32 v10, v13, v11, vcc_lo
	v_cmp_ne_u32_e32 vcc_lo, 0, v2
	v_cndmask_b32_e32 v51, v9, v3, vcc_lo
	v_cndmask_b32_e32 v50, v8, v10, vcc_lo
.LBB0_4:                                ;   in Loop: Header=BB0_2 Depth=1
	s_andn2_saveexec_b32 s0, s1
	s_cbranch_execz .LBB0_6
; %bb.5:                                ;   in Loop: Header=BB0_2 Depth=1
	v_cvt_f32_u32_e32 v2, s28
	s_sub_i32 s1, 0, s28
	v_mov_b32_e32 v51, v1
	v_rcp_iflag_f32_e32 v2, v2
	v_mul_f32_e32 v2, 0x4f7ffffe, v2
	v_cvt_u32_f32_e32 v2, v2
	v_mul_lo_u32 v3, s1, v2
	v_mul_hi_u32 v3, v2, v3
	v_add_nc_u32_e32 v2, v2, v3
	v_mul_hi_u32 v2, v6, v2
	v_mul_lo_u32 v3, v2, s28
	v_add_nc_u32_e32 v8, 1, v2
	v_sub_nc_u32_e32 v3, v6, v3
	v_subrev_nc_u32_e32 v9, s28, v3
	v_cmp_le_u32_e32 vcc_lo, s28, v3
	v_cndmask_b32_e32 v3, v3, v9, vcc_lo
	v_cndmask_b32_e32 v2, v2, v8, vcc_lo
	v_cmp_le_u32_e32 vcc_lo, s28, v3
	v_add_nc_u32_e32 v8, 1, v2
	v_cndmask_b32_e32 v50, v2, v8, vcc_lo
.LBB0_6:                                ;   in Loop: Header=BB0_2 Depth=1
	s_or_b32 exec_lo, exec_lo, s0
	v_mul_lo_u32 v8, v51, s28
	v_mul_lo_u32 v9, v50, s29
	s_load_dwordx2 s[0:1], s[22:23], 0x0
	v_mad_u64_u32 v[2:3], null, v50, s28, 0
	s_load_dwordx2 s[28:29], s[6:7], 0x0
	s_add_u32 s26, s26, 1
	s_addc_u32 s27, s27, 0
	s_add_u32 s6, s6, 8
	s_addc_u32 s7, s7, 0
	s_add_u32 s22, s22, 8
	v_add3_u32 v3, v3, v9, v8
	v_sub_co_u32 v2, vcc_lo, v6, v2
	s_addc_u32 s23, s23, 0
	s_add_u32 s24, s24, 8
	v_sub_co_ci_u32_e32 v3, vcc_lo, v7, v3, vcc_lo
	s_addc_u32 s25, s25, 0
	s_waitcnt lgkmcnt(0)
	v_mul_lo_u32 v6, s0, v3
	v_mul_lo_u32 v7, s1, v2
	v_mad_u64_u32 v[4:5], null, s0, v2, v[4:5]
	v_mul_lo_u32 v3, s28, v3
	v_mul_lo_u32 v8, s29, v2
	v_mad_u64_u32 v[48:49], null, s28, v2, v[48:49]
	v_cmp_ge_u64_e64 s0, s[26:27], s[14:15]
	v_add3_u32 v5, v7, v5, v6
	v_add3_u32 v49, v8, v49, v3
	s_and_b32 vcc_lo, exec_lo, s0
	s_cbranch_vccnz .LBB0_8
; %bb.7:                                ;   in Loop: Header=BB0_2 Depth=1
	v_mov_b32_e32 v6, v50
	v_mov_b32_e32 v7, v51
	s_branch .LBB0_2
.LBB0_8:
	s_load_dwordx2 s[0:1], s[4:5], 0x28
	v_mul_hi_u32 v1, 0x6666667, v0
	s_lshl_b64 s[6:7], s[14:15], 3
                                        ; implicit-def: $sgpr14
                                        ; implicit-def: $vgpr57
                                        ; implicit-def: $vgpr53
	s_add_u32 s4, s18, s6
	s_addc_u32 s5, s19, s7
	s_waitcnt lgkmcnt(0)
	v_cmp_gt_u64_e32 vcc_lo, s[0:1], v[50:51]
	v_cmp_le_u64_e64 s0, s[0:1], v[50:51]
	s_and_saveexec_b32 s1, s0
	s_xor_b32 s0, exec_lo, s1
; %bb.9:
	v_mul_u32_u24_e32 v1, 40, v1
	s_mov_b32 s14, 0
                                        ; implicit-def: $vgpr4_vgpr5
	v_sub_nc_u32_e32 v57, v0, v1
                                        ; implicit-def: $vgpr1
                                        ; implicit-def: $vgpr0
	v_add_nc_u32_e32 v53, 40, v57
; %bb.10:
	s_or_saveexec_b32 s1, s0
	s_load_dwordx2 s[4:5], s[4:5], 0x0
	v_mov_b32_e32 v56, s14
                                        ; implicit-def: $vgpr2_vgpr3
                                        ; implicit-def: $vgpr22_vgpr23
                                        ; implicit-def: $vgpr10_vgpr11
                                        ; implicit-def: $vgpr18_vgpr19
                                        ; implicit-def: $vgpr30_vgpr31
                                        ; implicit-def: $vgpr34_vgpr35
                                        ; implicit-def: $vgpr46_vgpr47
                                        ; implicit-def: $vgpr26_vgpr27
                                        ; implicit-def: $vgpr38_vgpr39
                                        ; implicit-def: $vgpr14_vgpr15
                                        ; implicit-def: $vgpr42_vgpr43
                                        ; implicit-def: $vgpr6_vgpr7
	s_xor_b32 exec_lo, exec_lo, s1
	s_cbranch_execz .LBB0_14
; %bb.11:
	s_add_u32 s6, s16, s6
	s_addc_u32 s7, s17, s7
	v_mul_u32_u24_e32 v1, 40, v1
	s_load_dwordx2 s[6:7], s[6:7], 0x0
	v_lshlrev_b64 v[4:5], 4, v[4:5]
                                        ; implicit-def: $vgpr44_vgpr45
                                        ; implicit-def: $vgpr32_vgpr33
	v_sub_nc_u32_e32 v57, v0, v1
	v_add_nc_u32_e32 v13, 0x64, v57
	v_add_nc_u32_e32 v15, 0xc8, v57
	v_mad_u64_u32 v[0:1], null, s20, v57, 0
	v_add_nc_u32_e32 v16, 0x12c, v57
	v_mad_u64_u32 v[6:7], null, s20, v13, 0
	v_mad_u64_u32 v[8:9], null, s20, v15, 0
	v_add_nc_u32_e32 v53, 40, v57
	v_add_nc_u32_e32 v20, 0x8c, v57
	s_waitcnt lgkmcnt(0)
	v_mul_lo_u32 v12, s7, v50
	v_mul_lo_u32 v14, s6, v51
	v_mad_u64_u32 v[2:3], null, s6, v50, 0
	v_add_nc_u32_e32 v23, 0xf0, v57
	s_mov_b32 s6, exec_lo
	v_mad_u64_u32 v[18:19], null, s20, v23, 0
	v_add3_u32 v3, v3, v14, v12
	v_mad_u64_u32 v[10:11], null, s21, v57, v[1:2]
	v_mad_u64_u32 v[11:12], null, s20, v16, 0
	v_lshlrev_b64 v[2:3], 4, v[2:3]
	v_mad_u64_u32 v[13:14], null, s21, v13, v[7:8]
	v_mov_b32_e32 v1, v10
	v_mad_u64_u32 v[9:10], null, s21, v15, v[9:10]
	v_add_co_u32 v2, s0, s8, v2
	v_add_co_ci_u32_e64 v3, s0, s9, v3, s0
	v_mov_b32_e32 v7, v13
	v_add_co_u32 v26, s0, v2, v4
	v_mov_b32_e32 v4, v12
	v_mad_u64_u32 v[13:14], null, s20, v53, 0
	v_lshlrev_b64 v[0:1], 4, v[0:1]
	v_add_co_ci_u32_e64 v27, s0, v3, v5, s0
	v_mad_u64_u32 v[15:16], null, s21, v16, v[4:5]
	v_mad_u64_u32 v[16:17], null, s20, v20, 0
	v_mov_b32_e32 v10, v14
	v_lshlrev_b64 v[2:3], 4, v[6:7]
	v_add_co_u32 v0, s0, v26, v0
	v_mov_b32_e32 v12, v15
	v_mad_u64_u32 v[14:15], null, s21, v53, v[10:11]
	v_mov_b32_e32 v10, v17
	v_add_nc_u32_e32 v15, 0x154, v57
	v_lshlrev_b64 v[8:9], 4, v[8:9]
	v_add_co_ci_u32_e64 v1, s0, v27, v1, s0
	v_mad_u64_u32 v[20:21], null, s21, v20, v[10:11]
	v_mad_u64_u32 v[21:22], null, s20, v15, 0
	v_add_co_u32 v2, s0, v26, v2
	v_lshlrev_b64 v[11:12], 4, v[11:12]
	v_mov_b32_e32 v10, v19
	v_add_co_ci_u32_e64 v3, s0, v27, v3, s0
	v_add_co_u32 v8, s0, v26, v8
	v_add_co_ci_u32_e64 v9, s0, v27, v9, s0
	v_mov_b32_e32 v17, v20
	v_mad_u64_u32 v[19:20], null, s21, v23, v[10:11]
	v_mov_b32_e32 v10, v22
	v_add_co_u32 v11, s0, v26, v11
	v_lshlrev_b64 v[13:14], 4, v[13:14]
	v_add_co_ci_u32_e64 v12, s0, v27, v12, s0
	v_mad_u64_u32 v[22:23], null, s21, v15, v[10:11]
	v_lshlrev_b64 v[15:16], 4, v[16:17]
	v_add_co_u32 v13, s0, v26, v13
	v_add_co_ci_u32_e64 v14, s0, v27, v14, s0
	v_lshlrev_b64 v[17:18], 4, v[18:19]
	v_add_co_u32 v24, s0, v26, v15
	v_add_co_ci_u32_e64 v25, s0, v27, v16, s0
	;; [unrolled: 3-line block ×3, first 2 shown]
	s_clause 0x1
	global_load_dwordx4 v[4:7], v[0:1], off
	global_load_dwordx4 v[0:3], v[2:3], off
	v_add_co_u32 v28, s0, v26, v15
	v_add_co_ci_u32_e64 v29, s0, v27, v16, s0
	s_clause 0x5
	global_load_dwordx4 v[20:23], v[8:9], off
	global_load_dwordx4 v[40:43], v[11:12], off
	;; [unrolled: 1-line block ×6, first 2 shown]
                                        ; implicit-def: $vgpr24_vgpr25
                                        ; implicit-def: $vgpr28_vgpr29
	v_cmpx_gt_u32_e32 20, v57
	s_cbranch_execz .LBB0_13
; %bb.12:
	v_add_nc_u32_e32 v34, 0x50, v57
	v_add_nc_u32_e32 v44, 0xb4, v57
	;; [unrolled: 1-line block ×4, first 2 shown]
	v_mad_u64_u32 v[24:25], null, s20, v34, 0
	v_mad_u64_u32 v[28:29], null, s20, v44, 0
	;; [unrolled: 1-line block ×7, first 2 shown]
	v_mov_b32_e32 v25, v34
	v_mad_u64_u32 v[46:47], null, s21, v47, v[33:34]
	v_mov_b32_e32 v29, v44
	v_lshlrev_b64 v[24:25], 4, v[24:25]
	v_mov_b32_e32 v31, v45
	v_lshlrev_b64 v[28:29], 4, v[28:29]
	;; [unrolled: 2-line block ×3, first 2 shown]
	v_add_co_u32 v24, s0, v26, v24
	v_add_co_ci_u32_e64 v25, s0, v27, v25, s0
	v_add_co_u32 v28, s0, v26, v28
	v_lshlrev_b64 v[32:33], 4, v[32:33]
	v_add_co_ci_u32_e64 v29, s0, v27, v29, s0
	v_add_co_u32 v34, s0, v26, v30
	v_add_co_ci_u32_e64 v35, s0, v27, v31, s0
	v_add_co_u32 v44, s0, v26, v32
	v_add_co_ci_u32_e64 v45, s0, v27, v33, s0
	s_clause 0x3
	global_load_dwordx4 v[24:27], v[24:25], off
	global_load_dwordx4 v[28:31], v[28:29], off
	;; [unrolled: 1-line block ×4, first 2 shown]
.LBB0_13:
	s_or_b32 exec_lo, exec_lo, s6
	v_mov_b32_e32 v56, v57
.LBB0_14:
	s_or_b32 exec_lo, exec_lo, s1
	s_waitcnt vmcnt(5)
	v_add_f64 v[20:21], v[4:5], -v[20:21]
	s_waitcnt vmcnt(4)
	v_add_f64 v[40:41], v[0:1], -v[40:41]
	s_waitcnt vmcnt(1)
	v_add_f64 v[54:55], v[12:13], -v[16:17]
	s_waitcnt vmcnt(0)
	v_add_f64 v[16:17], v[8:9], -v[36:37]
	v_add_f64 v[42:43], v[2:3], -v[42:43]
	v_add_f64 v[38:39], v[10:11], -v[38:39]
	;; [unrolled: 1-line block ×3, first 2 shown]
	v_cmp_gt_u32_e64 s0, 20, v57
	v_fma_f64 v[4:5], v[4:5], 2.0, -v[20:21]
	v_fma_f64 v[0:1], v[0:1], 2.0, -v[40:41]
	;; [unrolled: 1-line block ×4, first 2 shown]
	v_add_f64 v[60:61], v[20:21], -v[42:43]
	v_add_f64 v[64:65], v[54:55], -v[38:39]
	;; [unrolled: 1-line block ×3, first 2 shown]
	v_mul_hi_u32 v0, 0xaaaaaaab, v52
	v_add_f64 v[62:63], v[12:13], -v[8:9]
	v_fma_f64 v[68:69], v[20:21], 2.0, -v[60:61]
	v_add_f64 v[20:21], v[28:29], -v[44:45]
	v_fma_f64 v[72:73], v[54:55], 2.0, -v[64:65]
	v_lshrrev_b32_e32 v0, 1, v0
	v_lshl_add_u32 v0, v0, 1, v0
	v_sub_nc_u32_e32 v0, v52, v0
	v_fma_f64 v[66:67], v[4:5], 2.0, -v[58:59]
	v_add_nc_u32_e32 v4, 0x50, v57
	v_fma_f64 v[70:71], v[12:13], 2.0, -v[62:63]
	v_mul_u32_u24_e32 v1, 0x190, v0
	v_lshl_add_u32 v0, v57, 5, 0
	v_lshlrev_b32_e32 v45, 5, v4
	v_lshlrev_b32_e32 v44, 3, v1
	v_lshl_add_u32 v1, v53, 5, 0
	v_add_nc_u32_e32 v47, v0, v44
	v_add_nc_u32_e32 v46, v1, v44
	ds_write_b128 v47, v[58:61] offset:16
	ds_write_b128 v47, v[66:69]
	ds_write_b128 v46, v[70:73]
	ds_write_b128 v46, v[62:65] offset:16
	s_and_saveexec_b32 s1, s0
	s_cbranch_execz .LBB0_16
; %bb.15:
	v_add_f64 v[4:5], v[24:25], -v[32:33]
	v_fma_f64 v[8:9], v[28:29], 2.0, -v[20:21]
	v_fma_f64 v[12:13], v[24:25], 2.0, -v[4:5]
	v_add_f64 v[60:61], v[4:5], -v[36:37]
	v_add_f64 v[58:59], v[12:13], -v[8:9]
	v_fma_f64 v[64:65], v[4:5], 2.0, -v[60:61]
	v_add3_u32 v4, 0, v45, v44
	v_fma_f64 v[62:63], v[12:13], 2.0, -v[58:59]
	ds_write_b128 v4, v[62:65]
	ds_write_b128 v4, v[58:61] offset:16
.LBB0_16:
	s_or_b32 exec_lo, exec_lo, s1
	v_add_f64 v[4:5], v[6:7], -v[22:23]
	v_add_f64 v[8:9], v[14:15], -v[18:19]
	v_fma_f64 v[2:3], v[2:3], 2.0, -v[42:43]
	v_fma_f64 v[10:11], v[10:11], 2.0, -v[38:39]
	s_waitcnt lgkmcnt(0)
	s_barrier
	buffer_gl0_inv
	v_fma_f64 v[6:7], v[6:7], 2.0, -v[4:5]
	v_fma_f64 v[12:13], v[14:15], 2.0, -v[8:9]
	v_add_f64 v[40:41], v[40:41], v[4:5]
	v_add_f64 v[63:64], v[16:17], v[8:9]
	v_add_f64 v[38:39], v[6:7], -v[2:3]
	v_add_f64 v[61:62], v[12:13], -v[10:11]
	v_mul_i32_i24_e32 v10, 0xffffffe8, v57
	v_lshlrev_b32_e32 v2, 3, v57
	v_mul_i32_i24_e32 v3, 0xffffffe8, v53
	v_fma_f64 v[54:55], v[4:5], 2.0, -v[40:41]
	v_fma_f64 v[67:68], v[8:9], 2.0, -v[63:64]
	v_add3_u32 v60, v0, v10, v44
	v_add3_u32 v58, 0, v44, v2
	;; [unrolled: 1-line block ×3, first 2 shown]
	ds_read_b64 v[16:17], v58
	ds_read_b64 v[18:19], v59
	v_add_nc_u32_e32 v22, 0x400, v60
	v_add_nc_u32_e32 v23, 0x800, v60
	v_fma_f64 v[52:53], v[6:7], 2.0, -v[38:39]
	v_fma_f64 v[65:66], v[12:13], 2.0, -v[61:62]
	ds_read2_b64 v[12:15], v60 offset0:80 offset1:120
	ds_read2_b64 v[8:11], v60 offset0:160 offset1:200
	;; [unrolled: 1-line block ×4, first 2 shown]
	s_waitcnt lgkmcnt(0)
	s_barrier
	buffer_gl0_inv
	ds_write_b128 v47, v[38:41] offset:16
	ds_write_b128 v47, v[52:55]
	ds_write_b128 v46, v[65:68]
	ds_write_b128 v46, v[61:64] offset:16
	s_and_saveexec_b32 s1, s0
	s_cbranch_execz .LBB0_18
; %bb.17:
	v_add_f64 v[28:29], v[26:27], -v[34:35]
	v_fma_f64 v[24:25], v[30:31], 2.0, -v[36:37]
	v_fma_f64 v[32:33], v[26:27], 2.0, -v[28:29]
	v_add_f64 v[26:27], v[20:21], v[28:29]
	v_add3_u32 v20, 0, v45, v44
	v_add_f64 v[24:25], v[32:33], -v[24:25]
	v_fma_f64 v[30:31], v[28:29], 2.0, -v[26:27]
	v_fma_f64 v[28:29], v[32:33], 2.0, -v[24:25]
	ds_write_b128 v20, v[28:31]
	ds_write_b128 v20, v[24:27] offset:16
.LBB0_18:
	s_or_b32 exec_lo, exec_lo, s1
	v_and_b32_e32 v20, 3, v57
	s_waitcnt lgkmcnt(0)
	s_barrier
	buffer_gl0_inv
	s_mov_b32 s0, 0x134454ff
	v_mul_u32_u24_e32 v21, 9, v20
	s_mov_b32 s1, 0x3fee6f0e
	s_mov_b32 s7, 0xbfee6f0e
	;; [unrolled: 1-line block ×4, first 2 shown]
	v_lshlrev_b32_e32 v21, 4, v21
	s_mov_b32 s9, 0x3fe2cf23
	s_mov_b32 s15, 0xbfe2cf23
	s_mov_b32 s14, s8
	s_mov_b32 s16, 0x372fe950
	s_clause 0x8
	global_load_dwordx4 v[24:27], v21, s[12:13] offset:32
	global_load_dwordx4 v[28:31], v21, s[12:13] offset:64
	;; [unrolled: 1-line block ×8, first 2 shown]
	global_load_dwordx4 v[69:72], v21, s[12:13]
	ds_read2_b64 v[73:76], v60 offset0:80 offset1:120
	ds_read2_b64 v[77:80], v60 offset0:160 offset1:200
	;; [unrolled: 1-line block ×4, first 2 shown]
	s_mov_b32 s17, 0x3fd3c6ef
	s_mov_b32 s18, 0x9b97f4a8
	;; [unrolled: 1-line block ×3, first 2 shown]
	v_lshrrev_b32_e32 v21, 2, v57
	v_mul_u32_u24_e32 v21, 40, v21
	v_or_b32_e32 v47, v21, v20
	s_waitcnt vmcnt(8) lgkmcnt(3)
	v_mul_f64 v[45:46], v[75:76], v[26:27]
	v_mul_f64 v[26:27], v[14:15], v[26:27]
	s_waitcnt vmcnt(7) lgkmcnt(2)
	v_mul_f64 v[89:90], v[79:80], v[30:31]
	v_mul_f64 v[30:31], v[10:11], v[30:31]
	;; [unrolled: 3-line block ×3, first 2 shown]
	v_fma_f64 v[14:15], v[14:15], v[24:25], -v[45:46]
	v_fma_f64 v[24:25], v[75:76], v[24:25], v[26:27]
	s_waitcnt vmcnt(5)
	v_mul_f64 v[26:27], v[73:74], v[38:39]
	s_waitcnt vmcnt(4)
	v_mul_f64 v[45:46], v[77:78], v[42:43]
	v_fma_f64 v[10:11], v[10:11], v[28:29], -v[89:90]
	v_fma_f64 v[28:29], v[79:80], v[28:29], v[30:31]
	s_waitcnt vmcnt(3) lgkmcnt(0)
	v_mul_f64 v[30:31], v[87:88], v[54:55]
	v_mul_f64 v[54:55], v[2:3], v[54:55]
	v_fma_f64 v[6:7], v[6:7], v[32:33], -v[91:92]
	v_fma_f64 v[32:33], v[83:84], v[32:33], v[34:35]
	ds_read_b64 v[34:35], v59
	s_waitcnt vmcnt(2)
	v_mul_f64 v[75:76], v[81:82], v[63:64]
	v_fma_f64 v[26:27], v[12:13], v[36:37], -v[26:27]
	v_mul_f64 v[12:13], v[12:13], v[38:39]
	s_waitcnt vmcnt(1)
	v_mul_f64 v[38:39], v[85:86], v[67:68]
	v_fma_f64 v[45:46], v[8:9], v[40:41], -v[45:46]
	v_mul_f64 v[8:9], v[8:9], v[42:43]
	ds_read_b64 v[42:43], v58
	v_fma_f64 v[2:3], v[2:3], v[52:53], -v[30:31]
	v_fma_f64 v[30:31], v[87:88], v[52:53], v[54:55]
	s_waitcnt vmcnt(0) lgkmcnt(1)
	v_mul_f64 v[52:53], v[34:35], v[71:72]
	v_mul_f64 v[54:55], v[18:19], v[71:72]
	v_fma_f64 v[71:72], v[4:5], v[61:62], -v[75:76]
	v_mul_f64 v[4:5], v[4:5], v[63:64]
	v_mul_f64 v[63:64], v[0:1], v[67:68]
	v_add_f64 v[75:76], v[10:11], -v[14:15]
	v_add_f64 v[79:80], v[10:11], -v[6:7]
	;; [unrolled: 1-line block ×4, first 2 shown]
	s_waitcnt lgkmcnt(0)
	s_barrier
	buffer_gl0_inv
	v_fma_f64 v[12:13], v[73:74], v[36:37], v[12:13]
	v_fma_f64 v[0:1], v[0:1], v[65:66], -v[38:39]
	v_add_f64 v[38:39], v[10:11], v[6:7]
	v_fma_f64 v[8:9], v[77:78], v[40:41], v[8:9]
	v_add_f64 v[40:41], v[26:27], -v[45:46]
	v_add_f64 v[67:68], v[14:15], v[2:3]
	v_add_f64 v[73:74], v[2:3], -v[6:7]
	v_fma_f64 v[18:19], v[18:19], v[69:70], -v[52:53]
	v_fma_f64 v[34:35], v[34:35], v[69:70], v[54:55]
	v_add_f64 v[52:53], v[28:29], v[32:33]
	v_add_f64 v[54:55], v[24:25], v[30:31]
	v_fma_f64 v[4:5], v[81:82], v[61:62], v[4:5]
	v_fma_f64 v[36:37], v[85:86], v[65:66], v[63:64]
	v_add_f64 v[63:64], v[45:46], -v[26:27]
	v_add_f64 v[69:70], v[14:15], -v[10:11]
	;; [unrolled: 1-line block ×8, first 2 shown]
	v_add_f64 v[95:96], v[45:46], v[71:72]
	v_add_f64 v[61:62], v[0:1], -v[71:72]
	v_add_f64 v[65:66], v[71:72], -v[0:1]
	v_add_f64 v[97:98], v[26:27], v[0:1]
	v_fma_f64 v[67:68], v[67:68], -0.5, v[18:19]
	v_fma_f64 v[38:39], v[38:39], -0.5, v[18:19]
	;; [unrolled: 1-line block ×4, first 2 shown]
	v_add_f64 v[14:15], v[18:19], v[14:15]
	v_add_f64 v[18:19], v[8:9], v[4:5]
	;; [unrolled: 1-line block ×7, first 2 shown]
	v_add_f64 v[93:94], v[12:13], -v[36:37]
	v_add_f64 v[40:41], v[40:41], v[61:62]
	v_add_f64 v[61:62], v[63:64], v[65:66]
	;; [unrolled: 1-line block ×4, first 2 shown]
	v_fma_f64 v[95:96], v[95:96], -0.5, v[16:17]
	v_fma_f64 v[16:17], v[97:98], -0.5, v[16:17]
	v_fma_f64 v[77:78], v[81:82], s[0:1], v[67:68]
	v_fma_f64 v[69:70], v[83:84], s[6:7], v[38:39]
	;; [unrolled: 1-line block ×8, first 2 shown]
	v_add_f64 v[97:98], v[8:9], -v[4:5]
	v_fma_f64 v[18:19], v[18:19], -0.5, v[42:43]
	v_fma_f64 v[34:35], v[34:35], -0.5, v[42:43]
	v_add_f64 v[42:43], v[42:43], v[12:13]
	v_add_f64 v[26:27], v[26:27], -v[0:1]
	v_add_f64 v[89:90], v[89:90], v[45:46]
	v_add_f64 v[10:11], v[14:15], v[10:11]
	v_add_f64 v[45:46], v[45:46], -v[71:72]
	v_add_f64 v[14:15], v[12:13], -v[8:9]
	;; [unrolled: 1-line block ×3, first 2 shown]
	v_add_f64 v[24:25], v[24:25], v[28:29]
	v_fma_f64 v[77:78], v[83:84], s[14:15], v[77:78]
	v_fma_f64 v[69:70], v[81:82], s[14:15], v[69:70]
	;; [unrolled: 1-line block ×12, first 2 shown]
	v_add_f64 v[85:86], v[36:37], -v[4:5]
	v_add_f64 v[79:80], v[4:5], -v[36:37]
	v_add_f64 v[8:9], v[42:43], v[8:9]
	v_add_f64 v[28:29], v[89:90], v[71:72]
	v_fma_f64 v[42:43], v[26:27], s[6:7], v[18:19]
	v_fma_f64 v[18:19], v[26:27], s[0:1], v[18:19]
	;; [unrolled: 1-line block ×4, first 2 shown]
	v_add_f64 v[6:7], v[10:11], v[6:7]
	v_fma_f64 v[77:78], v[65:66], s[16:17], v[77:78]
	v_fma_f64 v[69:70], v[63:64], s[16:17], v[69:70]
	v_fma_f64 v[73:74], v[87:88], s[16:17], v[73:74]
	v_fma_f64 v[75:76], v[91:92], s[16:17], v[75:76]
	v_fma_f64 v[38:39], v[63:64], s[16:17], v[38:39]
	v_fma_f64 v[10:11], v[97:98], s[8:9], v[81:82]
	v_fma_f64 v[81:82], v[97:98], s[14:15], v[95:96]
	v_fma_f64 v[63:64], v[65:66], s[16:17], v[67:68]
	v_fma_f64 v[54:55], v[91:92], s[16:17], v[54:55]
	v_fma_f64 v[52:53], v[87:88], s[16:17], v[52:53]
	v_fma_f64 v[83:84], v[93:94], s[8:9], v[83:84]
	v_fma_f64 v[16:17], v[93:94], s[14:15], v[16:17]
	v_add_f64 v[14:15], v[14:15], v[85:86]
	v_add_f64 v[12:13], v[12:13], v[79:80]
	;; [unrolled: 1-line block ×5, first 2 shown]
	v_fma_f64 v[24:25], v[45:46], s[14:15], v[42:43]
	v_fma_f64 v[18:19], v[45:46], s[8:9], v[18:19]
	;; [unrolled: 1-line block ×4, first 2 shown]
	v_add_f64 v[2:3], v[6:7], v[2:3]
	v_mul_f64 v[87:88], v[77:78], s[16:17]
	v_mul_f64 v[89:90], v[69:70], s[18:19]
	;; [unrolled: 1-line block ×5, first 2 shown]
	v_fma_f64 v[6:7], v[40:41], s[16:17], v[10:11]
	v_fma_f64 v[10:11], v[40:41], s[16:17], v[81:82]
	v_mul_f64 v[40:41], v[63:64], s[6:7]
	v_mul_f64 v[42:43], v[54:55], s[16:17]
	;; [unrolled: 1-line block ×3, first 2 shown]
	v_fma_f64 v[32:33], v[61:62], s[16:17], v[83:84]
	v_fma_f64 v[16:17], v[61:62], s[16:17], v[16:17]
	v_add_f64 v[4:5], v[4:5], v[36:37]
	v_add_f64 v[8:9], v[8:9], v[30:31]
	v_fma_f64 v[20:21], v[14:15], s[16:17], v[24:25]
	v_fma_f64 v[14:15], v[14:15], s[16:17], v[18:19]
	;; [unrolled: 1-line block ×4, first 2 shown]
	v_add_f64 v[24:25], v[0:1], v[2:3]
	v_fma_f64 v[54:55], v[54:55], s[0:1], -v[87:88]
	v_fma_f64 v[52:53], v[52:53], s[8:9], -v[89:90]
	v_fma_f64 v[38:39], v[38:39], s[18:19], v[65:66]
	v_fma_f64 v[61:62], v[63:64], s[16:17], v[67:68]
	;; [unrolled: 1-line block ×3, first 2 shown]
	v_add_f64 v[0:1], v[0:1], -v[2:3]
	v_fma_f64 v[28:29], v[75:76], s[16:17], v[40:41]
	v_fma_f64 v[30:31], v[77:78], s[6:7], -v[42:43]
	v_fma_f64 v[34:35], v[69:70], s[14:15], -v[45:46]
	v_add_f64 v[40:41], v[16:17], v[54:55]
	v_add_f64 v[42:43], v[10:11], v[52:53]
	;; [unrolled: 1-line block ×4, first 2 shown]
	v_add_f64 v[6:7], v[6:7], -v[38:39]
	v_add_f64 v[32:33], v[32:33], -v[61:62]
	;; [unrolled: 1-line block ×4, first 2 shown]
	v_lshlrev_b32_e32 v38, 3, v47
	v_add_f64 v[46:47], v[20:21], v[26:27]
	v_add_f64 v[61:62], v[18:19], v[28:29]
	;; [unrolled: 1-line block ×4, first 2 shown]
	v_add3_u32 v67, 0, v38, v44
	v_add_f64 v[38:39], v[4:5], v[8:9]
	v_add_f64 v[44:45], v[4:5], -v[8:9]
	v_add_f64 v[20:21], v[20:21], -v[26:27]
	;; [unrolled: 1-line block ×5, first 2 shown]
	ds_write2_b64 v67, v[24:25], v[2:3] offset1:4
	ds_write2_b64 v67, v[36:37], v[40:41] offset0:8 offset1:12
	ds_write2_b64 v67, v[42:43], v[0:1] offset0:16 offset1:20
	;; [unrolled: 1-line block ×4, first 2 shown]
	s_waitcnt lgkmcnt(0)
	s_barrier
	buffer_gl0_inv
	ds_read_b64 v[52:53], v58
	ds_read_b64 v[54:55], v59
	ds_read2_b64 v[0:3], v60 offset0:80 offset1:120
	ds_read2_b64 v[8:11], v60 offset0:160 offset1:200
	ds_read2_b64 v[12:15], v22 offset0:112 offset1:152
	ds_read2_b64 v[4:7], v23 offset0:64 offset1:104
	s_waitcnt lgkmcnt(0)
	s_barrier
	buffer_gl0_inv
	ds_write2_b64 v67, v[38:39], v[46:47] offset1:4
	ds_write2_b64 v67, v[61:62], v[63:64] offset0:8 offset1:12
	ds_write2_b64 v67, v[65:66], v[44:45] offset0:16 offset1:20
	;; [unrolled: 1-line block ×4, first 2 shown]
	s_waitcnt lgkmcnt(0)
	s_barrier
	buffer_gl0_inv
	s_and_saveexec_b32 s20, vcc_lo
	s_cbranch_execz .LBB0_20
; %bb.19:
	v_mul_u32_u24_e32 v16, 9, v57
	v_add_nc_u32_e32 v57, 0x400, v60
	v_mul_lo_u32 v91, s5, v50
	v_mul_lo_u32 v92, s4, v51
	v_mad_u64_u32 v[73:74], null, s4, v50, 0
	v_lshlrev_b32_e32 v32, 4, v16
	v_lshlrev_b64 v[77:78], 4, v[48:49]
	v_mad_u64_u32 v[75:76], null, s2, v56, 0
	s_clause 0x8
	global_load_dwordx4 v[61:64], v32, s[12:13] offset:640
	global_load_dwordx4 v[65:68], v32, s[12:13] offset:672
	global_load_dwordx4 v[40:43], v32, s[12:13] offset:608
	global_load_dwordx4 v[69:72], v32, s[12:13] offset:704
	global_load_dwordx4 v[16:19], v32, s[12:13] offset:624
	global_load_dwordx4 v[28:31], v32, s[12:13] offset:656
	global_load_dwordx4 v[20:23], v32, s[12:13] offset:592
	global_load_dwordx4 v[24:27], v32, s[12:13] offset:688
	global_load_dwordx4 v[32:35], v32, s[12:13] offset:576
	ds_read2_b64 v[44:47], v60 offset0:160 offset1:200
	ds_read2_b64 v[48:51], v57 offset0:112 offset1:152
	v_add_nc_u32_e32 v93, 40, v56
	v_add_nc_u32_e32 v94, 0x50, v56
	ds_read2_b64 v[36:39], v60 offset0:80 offset1:120
	v_add_nc_u32_e32 v95, 0x78, v56
	v_add_nc_u32_e32 v96, 0xa0, v56
	v_mad_u64_u32 v[81:82], null, s2, v93, 0
	v_mad_u64_u32 v[83:84], null, s2, v94, 0
	v_add_nc_u32_e32 v97, 0xc8, v56
	v_mov_b32_e32 v57, v76
	v_mad_u64_u32 v[85:86], null, s2, v95, 0
	v_mad_u64_u32 v[87:88], null, s2, v96, 0
	;; [unrolled: 1-line block ×3, first 2 shown]
	v_add3_u32 v74, v74, v92, v91
	v_mad_u64_u32 v[91:92], null, s3, v56, v[57:58]
	v_mov_b32_e32 v57, v82
	v_add_nc_u32_e32 v100, 0x800, v60
	v_mov_b32_e32 v60, v84
	v_mov_b32_e32 v76, v86
	;; [unrolled: 1-line block ×3, first 2 shown]
	v_mad_u64_u32 v[92:93], null, s3, v93, v[57:58]
	v_add_nc_u32_e32 v99, 0xf0, v56
	v_mov_b32_e32 v57, v90
	v_mad_u64_u32 v[97:98], null, s3, v97, v[57:58]
	v_mov_b32_e32 v90, v97
	s_waitcnt vmcnt(8) lgkmcnt(2)
	v_mul_f64 v[79:80], v[46:47], v[63:64]
	v_mul_f64 v[63:64], v[10:11], v[63:64]
	v_mad_u64_u32 v[93:94], null, s3, v94, v[60:61]
	v_mov_b32_e32 v84, v93
	v_fma_f64 v[10:11], v[10:11], v[61:62], -v[79:80]
	s_waitcnt vmcnt(7) lgkmcnt(1)
	v_mul_f64 v[79:80], v[50:51], v[67:68]
	v_mul_f64 v[67:68], v[14:15], v[67:68]
	v_fma_f64 v[46:47], v[61:62], v[46:47], v[63:64]
	v_lshlrev_b64 v[60:61], 4, v[73:74]
	v_mad_u64_u32 v[73:74], null, s3, v95, v[76:77]
	v_mad_u64_u32 v[94:95], null, s3, v96, v[82:83]
	;; [unrolled: 1-line block ×3, first 2 shown]
	v_add_co_u32 v57, vcc_lo, s10, v60
	v_add_co_ci_u32_e32 v74, vcc_lo, s11, v61, vcc_lo
	ds_read2_b64 v[60:63], v100 offset0:64 offset1:104
	v_add_co_u32 v107, vcc_lo, v57, v77
	v_mov_b32_e32 v57, v96
	v_add_co_ci_u32_e32 v108, vcc_lo, v74, v78, vcc_lo
	s_waitcnt vmcnt(5)
	v_mul_f64 v[77:78], v[6:7], v[71:72]
	v_add_nc_u32_e32 v74, 0x168, v56
	v_fma_f64 v[14:15], v[14:15], v[65:66], -v[79:80]
	v_fma_f64 v[50:51], v[65:66], v[50:51], v[67:68]
	s_waitcnt lgkmcnt(1)
	v_mul_f64 v[64:65], v[38:39], v[42:43]
	v_mul_f64 v[42:43], v[2:3], v[42:43]
	v_mad_u64_u32 v[66:67], null, s3, v99, v[57:58]
	v_add_nc_u32_e32 v57, 0x118, v56
	v_mov_b32_e32 v86, v73
	s_waitcnt vmcnt(0)
	v_mul_f64 v[79:80], v[54:55], v[34:35]
	v_mov_b32_e32 v76, v91
	v_mov_b32_e32 v82, v92
	v_mad_u64_u32 v[67:68], null, s2, v57, 0
	v_mov_b32_e32 v96, v66
	v_lshlrev_b64 v[83:84], 4, v[83:84]
	v_lshlrev_b64 v[81:82], 4, v[81:82]
	v_mov_b32_e32 v88, v94
	v_lshlrev_b64 v[85:86], 4, v[85:86]
	v_fma_f64 v[2:3], v[2:3], v[40:41], -v[64:65]
	v_fma_f64 v[38:39], v[40:41], v[38:39], v[42:43]
	s_waitcnt lgkmcnt(0)
	v_mul_f64 v[40:41], v[62:63], v[71:72]
	v_mov_b32_e32 v42, v68
	v_or_b32_e32 v68, 0x140, v56
	v_fma_f64 v[62:63], v[69:70], v[62:63], v[77:78]
	v_mul_f64 v[72:73], v[12:13], v[30:31]
	v_mul_f64 v[77:78], v[4:5], v[26:27]
	v_mad_u64_u32 v[42:43], null, s3, v57, v[42:43]
	v_mad_u64_u32 v[56:57], null, s2, v68, 0
	;; [unrolled: 1-line block ×3, first 2 shown]
	v_mul_f64 v[30:31], v[48:49], v[30:31]
	v_mul_f64 v[26:27], v[60:61], v[26:27]
	v_mov_b32_e32 v43, v57
	v_mov_b32_e32 v57, v65
	v_add_f64 v[93:94], v[46:47], -v[38:39]
	v_fma_f64 v[6:7], v[6:7], v[69:70], -v[40:41]
	v_mad_u64_u32 v[69:70], null, s3, v68, v[43:44]
	ds_read_b64 v[70:71], v59
	v_mul_f64 v[40:41], v[8:9], v[18:19]
	v_mov_b32_e32 v68, v42
	v_mul_f64 v[42:43], v[0:1], v[22:23]
	v_mad_u64_u32 v[65:66], null, s3, v74, v[57:58]
	v_lshlrev_b64 v[74:75], 4, v[75:76]
	v_mov_b32_e32 v57, v69
	v_lshlrev_b64 v[66:67], 4, v[67:68]
	v_fma_f64 v[68:69], v[48:49], v[28:29], v[72:73]
	v_mul_f64 v[18:19], v[44:45], v[18:19]
	v_mul_f64 v[22:23], v[36:37], v[22:23]
	v_add_co_u32 v48, vcc_lo, v107, v74
	v_add_co_ci_u32_e32 v49, vcc_lo, v108, v75, vcc_lo
	v_add_co_u32 v72, vcc_lo, v107, v81
	v_add_co_ci_u32_e32 v73, vcc_lo, v108, v82, vcc_lo
	s_waitcnt lgkmcnt(0)
	v_mul_f64 v[34:35], v[70:71], v[34:35]
	v_add_f64 v[74:75], v[2:3], v[6:7]
	v_fma_f64 v[12:13], v[12:13], v[28:29], -v[30:31]
	v_fma_f64 v[40:41], v[44:45], v[16:17], v[40:41]
	v_fma_f64 v[4:5], v[4:5], v[24:25], -v[26:27]
	v_fma_f64 v[36:37], v[36:37], v[20:21], v[42:43]
	v_fma_f64 v[42:43], v[60:61], v[24:25], v[77:78]
	;; [unrolled: 1-line block ×3, first 2 shown]
	v_add_f64 v[70:71], v[38:39], v[62:63]
	v_add_f64 v[30:31], v[10:11], -v[14:15]
	v_add_f64 v[80:81], v[2:3], -v[6:7]
	;; [unrolled: 1-line block ×3, first 2 shown]
	v_fma_f64 v[8:9], v[8:9], v[16:17], -v[18:19]
	v_fma_f64 v[0:1], v[0:1], v[20:21], -v[22:23]
	v_add_f64 v[20:21], v[2:3], -v[10:11]
	v_add_f64 v[22:23], v[6:7], -v[14:15]
	v_add_co_u32 v76, vcc_lo, v107, v83
	v_add_f64 v[24:25], v[38:39], -v[46:47]
	v_add_f64 v[26:27], v[62:63], -v[50:51]
	;; [unrolled: 1-line block ×3, first 2 shown]
	v_lshlrev_b64 v[44:45], 4, v[87:88]
	v_fma_f64 v[32:33], v[54:55], v[32:33], -v[34:35]
	v_add_f64 v[34:35], v[10:11], v[14:15]
	v_add_f64 v[54:55], v[46:47], v[50:51]
	v_lshlrev_b64 v[87:88], 4, v[89:90]
	v_lshlrev_b64 v[89:90], 4, v[95:96]
	v_add_f64 v[16:17], v[36:37], -v[40:41]
	v_add_f64 v[18:19], v[42:43], -v[68:69]
	v_add_f64 v[28:29], v[10:11], -v[2:3]
	v_fma_f64 v[70:71], v[70:71], -0.5, v[60:61]
	v_add_f64 v[78:79], v[14:15], -v[6:7]
	v_add_f64 v[95:96], v[50:51], -v[62:63]
	v_add_f64 v[99:100], v[40:41], v[68:69]
	v_add_f64 v[101:102], v[36:37], v[42:43]
	;; [unrolled: 1-line block ×4, first 2 shown]
	ds_read_b64 v[58:59], v58
	v_add_f64 v[97:98], v[40:41], -v[36:37]
	v_add_f64 v[105:106], v[68:69], -v[42:43]
	v_add_co_ci_u32_e32 v77, vcc_lo, v108, v84, vcc_lo
	v_add_f64 v[24:25], v[24:25], v[26:27]
	v_add_co_u32 v84, vcc_lo, v107, v85
	v_fma_f64 v[34:35], v[34:35], -0.5, v[32:33]
	v_fma_f64 v[54:55], v[54:55], -0.5, v[60:61]
	;; [unrolled: 1-line block ×3, first 2 shown]
	v_add_f64 v[60:61], v[8:9], v[12:13]
	v_add_f64 v[2:3], v[2:3], v[32:33]
	;; [unrolled: 1-line block ×4, first 2 shown]
	v_fma_f64 v[32:33], v[30:31], s[6:7], v[70:71]
	v_fma_f64 v[70:71], v[30:31], s[0:1], v[70:71]
	v_add_f64 v[28:29], v[28:29], v[78:79]
	v_add_f64 v[93:94], v[93:94], v[95:96]
	;; [unrolled: 1-line block ×3, first 2 shown]
	s_waitcnt lgkmcnt(0)
	v_add_f64 v[78:79], v[36:37], v[58:59]
	v_fma_f64 v[99:100], v[99:100], -0.5, v[58:59]
	v_fma_f64 v[58:59], v[101:102], -0.5, v[58:59]
	v_add_f64 v[101:102], v[0:1], -v[4:5]
	v_add_f64 v[36:37], v[36:37], -v[42:43]
	v_add_f64 v[38:39], v[46:47], v[38:39]
	v_add_f64 v[97:98], v[97:98], v[105:106]
	v_add_co_ci_u32_e32 v85, vcc_lo, v108, v86, vcc_lo
	v_add_co_u32 v44, vcc_lo, v107, v44
	v_fma_f64 v[20:21], v[80:81], s[0:1], v[54:55]
	v_fma_f64 v[22:23], v[80:81], s[6:7], v[54:55]
	;; [unrolled: 1-line block ×6, first 2 shown]
	v_fma_f64 v[60:61], v[60:61], -0.5, v[52:53]
	v_fma_f64 v[52:53], v[103:104], -0.5, v[52:53]
	v_add_f64 v[103:104], v[8:9], -v[12:13]
	v_fma_f64 v[32:33], v[80:81], s[8:9], v[32:33]
	v_fma_f64 v[70:71], v[80:81], s[14:15], v[70:71]
	v_add_f64 v[80:81], v[40:41], -v[68:69]
	v_add_f64 v[40:41], v[40:41], v[78:79]
	v_add_f64 v[2:3], v[10:11], v[2:3]
	v_fma_f64 v[10:11], v[101:102], s[0:1], v[99:100]
	v_fma_f64 v[78:79], v[101:102], s[6:7], v[99:100]
	v_add_f64 v[38:39], v[50:51], v[38:39]
	v_add_co_ci_u32_e32 v45, vcc_lo, v108, v45, vcc_lo
	v_lshlrev_b64 v[56:57], 4, v[56:57]
	v_lshlrev_b64 v[64:65], 4, v[64:65]
	v_fma_f64 v[20:21], v[30:31], s[8:9], v[20:21]
	v_fma_f64 v[22:23], v[30:31], s[14:15], v[22:23]
	;; [unrolled: 1-line block ×6, first 2 shown]
	v_add_f64 v[30:31], v[0:1], -v[8:9]
	v_add_f64 v[0:1], v[8:9], -v[0:1]
	v_add_f64 v[8:9], v[95:96], v[8:9]
	v_add_f64 v[82:83], v[4:5], -v[12:13]
	v_add_f64 v[91:92], v[12:13], -v[4:5]
	v_fma_f64 v[46:47], v[103:104], s[6:7], v[58:59]
	v_fma_f64 v[58:59], v[103:104], s[0:1], v[58:59]
	;; [unrolled: 1-line block ×7, first 2 shown]
	v_add_f64 v[2:3], v[14:15], v[2:3]
	v_fma_f64 v[10:11], v[103:104], s[8:9], v[10:11]
	v_add_f64 v[38:39], v[62:63], v[38:39]
	v_fma_f64 v[20:21], v[24:25], s[16:17], v[20:21]
	v_fma_f64 v[22:23], v[24:25], s[16:17], v[22:23]
	;; [unrolled: 1-line block ×7, first 2 shown]
	v_add_f64 v[34:35], v[68:69], v[40:41]
	v_add_f64 v[8:9], v[8:9], v[12:13]
	;; [unrolled: 1-line block ×4, first 2 shown]
	v_fma_f64 v[12:13], v[101:102], s[8:9], v[46:47]
	v_fma_f64 v[14:15], v[101:102], s[14:15], v[58:59]
	;; [unrolled: 1-line block ×7, first 2 shown]
	v_mul_f64 v[60:61], v[32:33], s[16:17]
	v_mul_f64 v[58:59], v[20:21], s[18:19]
	;; [unrolled: 1-line block ×8, first 2 shown]
	v_add_f64 v[34:35], v[42:43], v[34:35]
	v_add_f64 v[4:5], v[4:5], v[8:9]
	;; [unrolled: 1-line block ×3, first 2 shown]
	v_fma_f64 v[42:43], v[16:17], s[16:17], v[10:11]
	v_fma_f64 v[12:13], v[97:98], s[16:17], v[12:13]
	;; [unrolled: 1-line block ×6, first 2 shown]
	v_fma_f64 v[28:29], v[28:29], s[6:7], -v[60:61]
	v_fma_f64 v[50:51], v[18:19], s[14:15], -v[58:59]
	v_fma_f64 v[58:59], v[0:1], s[16:17], v[36:37]
	v_fma_f64 v[36:37], v[30:31], s[16:17], v[52:53]
	;; [unrolled: 1-line block ×6, first 2 shown]
	v_fma_f64 v[70:71], v[32:33], s[0:1], -v[82:83]
	v_fma_f64 v[60:61], v[20:21], s[8:9], -v[74:75]
	v_add_f64 v[0:1], v[4:5], -v[8:9]
	v_add_f64 v[6:7], v[34:35], v[38:39]
	v_add_f64 v[4:5], v[4:5], v[8:9]
	v_add_f64 v[2:3], v[34:35], -v[38:39]
	v_add_co_u32 v74, vcc_lo, v107, v87
	v_add_co_ci_u32_e32 v75, vcc_lo, v108, v88, vcc_lo
	v_add_co_u32 v78, vcc_lo, v107, v89
	v_add_f64 v[14:15], v[12:13], -v[28:29]
	v_add_f64 v[26:27], v[12:13], v[28:29]
	v_add_co_ci_u32_e32 v79, vcc_lo, v108, v90, vcc_lo
	v_add_f64 v[22:23], v[42:43], v[50:51]
	v_add_f64 v[10:11], v[42:43], -v[50:51]
	v_add_f64 v[34:35], v[16:17], v[52:53]
	v_add_f64 v[32:33], v[36:37], v[54:55]
	;; [unrolled: 1-line block ×4, first 2 shown]
	v_add_f64 v[18:19], v[62:63], -v[24:25]
	v_add_f64 v[24:25], v[46:47], v[70:71]
	v_add_f64 v[20:21], v[40:41], v[60:61]
	v_add_f64 v[38:39], v[16:17], -v[52:53]
	v_add_f64 v[36:37], v[36:37], -v[54:55]
	v_add_f64 v[16:17], v[58:59], -v[68:69]
	v_add_f64 v[12:13], v[46:47], -v[70:71]
	v_add_f64 v[8:9], v[40:41], -v[60:61]
	v_add_co_u32 v40, vcc_lo, v107, v66
	v_add_co_ci_u32_e32 v41, vcc_lo, v108, v67, vcc_lo
	v_add_co_u32 v42, vcc_lo, v107, v56
	v_add_co_ci_u32_e32 v43, vcc_lo, v108, v57, vcc_lo
	;; [unrolled: 2-line block ×3, first 2 shown]
	global_store_dwordx4 v[48:49], v[4:7], off
	global_store_dwordx4 v[72:73], v[32:35], off
	;; [unrolled: 1-line block ×10, first 2 shown]
.LBB0_20:
	s_endpgm
	.section	.rodata,"a",@progbits
	.p2align	6, 0x0
	.amdhsa_kernel fft_rtc_fwd_len400_factors_4_10_10_wgs_120_tpt_40_halfLds_dp_op_CI_CI_sbrr_dirReg
		.amdhsa_group_segment_fixed_size 0
		.amdhsa_private_segment_fixed_size 0
		.amdhsa_kernarg_size 104
		.amdhsa_user_sgpr_count 6
		.amdhsa_user_sgpr_private_segment_buffer 1
		.amdhsa_user_sgpr_dispatch_ptr 0
		.amdhsa_user_sgpr_queue_ptr 0
		.amdhsa_user_sgpr_kernarg_segment_ptr 1
		.amdhsa_user_sgpr_dispatch_id 0
		.amdhsa_user_sgpr_flat_scratch_init 0
		.amdhsa_user_sgpr_private_segment_size 0
		.amdhsa_wavefront_size32 1
		.amdhsa_uses_dynamic_stack 0
		.amdhsa_system_sgpr_private_segment_wavefront_offset 0
		.amdhsa_system_sgpr_workgroup_id_x 1
		.amdhsa_system_sgpr_workgroup_id_y 0
		.amdhsa_system_sgpr_workgroup_id_z 0
		.amdhsa_system_sgpr_workgroup_info 0
		.amdhsa_system_vgpr_workitem_id 0
		.amdhsa_next_free_vgpr 109
		.amdhsa_next_free_sgpr 31
		.amdhsa_reserve_vcc 1
		.amdhsa_reserve_flat_scratch 0
		.amdhsa_float_round_mode_32 0
		.amdhsa_float_round_mode_16_64 0
		.amdhsa_float_denorm_mode_32 3
		.amdhsa_float_denorm_mode_16_64 3
		.amdhsa_dx10_clamp 1
		.amdhsa_ieee_mode 1
		.amdhsa_fp16_overflow 0
		.amdhsa_workgroup_processor_mode 1
		.amdhsa_memory_ordered 1
		.amdhsa_forward_progress 0
		.amdhsa_shared_vgpr_count 0
		.amdhsa_exception_fp_ieee_invalid_op 0
		.amdhsa_exception_fp_denorm_src 0
		.amdhsa_exception_fp_ieee_div_zero 0
		.amdhsa_exception_fp_ieee_overflow 0
		.amdhsa_exception_fp_ieee_underflow 0
		.amdhsa_exception_fp_ieee_inexact 0
		.amdhsa_exception_int_div_zero 0
	.end_amdhsa_kernel
	.text
.Lfunc_end0:
	.size	fft_rtc_fwd_len400_factors_4_10_10_wgs_120_tpt_40_halfLds_dp_op_CI_CI_sbrr_dirReg, .Lfunc_end0-fft_rtc_fwd_len400_factors_4_10_10_wgs_120_tpt_40_halfLds_dp_op_CI_CI_sbrr_dirReg
                                        ; -- End function
	.section	.AMDGPU.csdata,"",@progbits
; Kernel info:
; codeLenInByte = 7136
; NumSgprs: 33
; NumVgprs: 109
; ScratchSize: 0
; MemoryBound: 1
; FloatMode: 240
; IeeeMode: 1
; LDSByteSize: 0 bytes/workgroup (compile time only)
; SGPRBlocks: 4
; VGPRBlocks: 13
; NumSGPRsForWavesPerEU: 33
; NumVGPRsForWavesPerEU: 109
; Occupancy: 9
; WaveLimiterHint : 1
; COMPUTE_PGM_RSRC2:SCRATCH_EN: 0
; COMPUTE_PGM_RSRC2:USER_SGPR: 6
; COMPUTE_PGM_RSRC2:TRAP_HANDLER: 0
; COMPUTE_PGM_RSRC2:TGID_X_EN: 1
; COMPUTE_PGM_RSRC2:TGID_Y_EN: 0
; COMPUTE_PGM_RSRC2:TGID_Z_EN: 0
; COMPUTE_PGM_RSRC2:TIDIG_COMP_CNT: 0
	.text
	.p2alignl 6, 3214868480
	.fill 48, 4, 3214868480
	.type	__hip_cuid_ffab8db35f487904,@object ; @__hip_cuid_ffab8db35f487904
	.section	.bss,"aw",@nobits
	.globl	__hip_cuid_ffab8db35f487904
__hip_cuid_ffab8db35f487904:
	.byte	0                               ; 0x0
	.size	__hip_cuid_ffab8db35f487904, 1

	.ident	"AMD clang version 19.0.0git (https://github.com/RadeonOpenCompute/llvm-project roc-6.4.0 25133 c7fe45cf4b819c5991fe208aaa96edf142730f1d)"
	.section	".note.GNU-stack","",@progbits
	.addrsig
	.addrsig_sym __hip_cuid_ffab8db35f487904
	.amdgpu_metadata
---
amdhsa.kernels:
  - .args:
      - .actual_access:  read_only
        .address_space:  global
        .offset:         0
        .size:           8
        .value_kind:     global_buffer
      - .offset:         8
        .size:           8
        .value_kind:     by_value
      - .actual_access:  read_only
        .address_space:  global
        .offset:         16
        .size:           8
        .value_kind:     global_buffer
      - .actual_access:  read_only
        .address_space:  global
        .offset:         24
        .size:           8
        .value_kind:     global_buffer
      - .actual_access:  read_only
        .address_space:  global
        .offset:         32
        .size:           8
        .value_kind:     global_buffer
      - .offset:         40
        .size:           8
        .value_kind:     by_value
      - .actual_access:  read_only
        .address_space:  global
        .offset:         48
        .size:           8
        .value_kind:     global_buffer
      - .actual_access:  read_only
        .address_space:  global
        .offset:         56
        .size:           8
        .value_kind:     global_buffer
      - .offset:         64
        .size:           4
        .value_kind:     by_value
      - .actual_access:  read_only
        .address_space:  global
        .offset:         72
        .size:           8
        .value_kind:     global_buffer
      - .actual_access:  read_only
        .address_space:  global
        .offset:         80
        .size:           8
        .value_kind:     global_buffer
      - .actual_access:  read_only
        .address_space:  global
        .offset:         88
        .size:           8
        .value_kind:     global_buffer
      - .actual_access:  write_only
        .address_space:  global
        .offset:         96
        .size:           8
        .value_kind:     global_buffer
    .group_segment_fixed_size: 0
    .kernarg_segment_align: 8
    .kernarg_segment_size: 104
    .language:       OpenCL C
    .language_version:
      - 2
      - 0
    .max_flat_workgroup_size: 120
    .name:           fft_rtc_fwd_len400_factors_4_10_10_wgs_120_tpt_40_halfLds_dp_op_CI_CI_sbrr_dirReg
    .private_segment_fixed_size: 0
    .sgpr_count:     33
    .sgpr_spill_count: 0
    .symbol:         fft_rtc_fwd_len400_factors_4_10_10_wgs_120_tpt_40_halfLds_dp_op_CI_CI_sbrr_dirReg.kd
    .uniform_work_group_size: 1
    .uses_dynamic_stack: false
    .vgpr_count:     109
    .vgpr_spill_count: 0
    .wavefront_size: 32
    .workgroup_processor_mode: 1
amdhsa.target:   amdgcn-amd-amdhsa--gfx1030
amdhsa.version:
  - 1
  - 2
...

	.end_amdgpu_metadata
